;; amdgpu-corpus repo=ROCm/rocFFT kind=compiled arch=gfx1100 opt=O3
	.text
	.amdgcn_target "amdgcn-amd-amdhsa--gfx1100"
	.amdhsa_code_object_version 6
	.protected	fft_rtc_fwd_len624_factors_13_4_6_2_wgs_52_tpt_52_dp_ip_CI_sbrr_dirReg ; -- Begin function fft_rtc_fwd_len624_factors_13_4_6_2_wgs_52_tpt_52_dp_ip_CI_sbrr_dirReg
	.globl	fft_rtc_fwd_len624_factors_13_4_6_2_wgs_52_tpt_52_dp_ip_CI_sbrr_dirReg
	.p2align	8
	.type	fft_rtc_fwd_len624_factors_13_4_6_2_wgs_52_tpt_52_dp_ip_CI_sbrr_dirReg,@function
fft_rtc_fwd_len624_factors_13_4_6_2_wgs_52_tpt_52_dp_ip_CI_sbrr_dirReg: ; @fft_rtc_fwd_len624_factors_13_4_6_2_wgs_52_tpt_52_dp_ip_CI_sbrr_dirReg
; %bb.0:
	s_clause 0x2
	s_load_b64 s[12:13], s[0:1], 0x18
	s_load_b128 s[4:7], s[0:1], 0x0
	s_load_b64 s[10:11], s[0:1], 0x50
	v_mul_u32_u24_e32 v1, 0x4ed, v0
	v_mov_b32_e32 v3, 0
	v_mov_b32_e32 v4, 0
	s_delay_alu instid0(VALU_DEP_3) | instskip(SKIP_1) | instid1(VALU_DEP_1)
	v_lshrrev_b32_e32 v2, 16, v1
	v_mov_b32_e32 v1, 0
	v_dual_mov_b32 v6, v1 :: v_dual_add_nc_u32 v5, s15, v2
	s_waitcnt lgkmcnt(0)
	s_load_b64 s[8:9], s[12:13], 0x0
	v_cmp_lt_u64_e64 s2, s[6:7], 2
	s_delay_alu instid0(VALU_DEP_1)
	s_and_b32 vcc_lo, exec_lo, s2
	s_cbranch_vccnz .LBB0_8
; %bb.1:
	s_load_b64 s[2:3], s[0:1], 0x10
	v_mov_b32_e32 v3, 0
	s_add_u32 s14, s12, 8
	v_mov_b32_e32 v4, 0
	s_addc_u32 s15, s13, 0
	s_mov_b64 s[18:19], 1
	s_waitcnt lgkmcnt(0)
	s_add_u32 s16, s2, 8
	s_addc_u32 s17, s3, 0
.LBB0_2:                                ; =>This Inner Loop Header: Depth=1
	s_load_b64 s[20:21], s[16:17], 0x0
                                        ; implicit-def: $vgpr7_vgpr8
	s_mov_b32 s2, exec_lo
	s_waitcnt lgkmcnt(0)
	v_or_b32_e32 v2, s21, v6
	s_delay_alu instid0(VALU_DEP_1)
	v_cmpx_ne_u64_e32 0, v[1:2]
	s_xor_b32 s3, exec_lo, s2
	s_cbranch_execz .LBB0_4
; %bb.3:                                ;   in Loop: Header=BB0_2 Depth=1
	v_cvt_f32_u32_e32 v2, s20
	v_cvt_f32_u32_e32 v7, s21
	s_sub_u32 s2, 0, s20
	s_subb_u32 s22, 0, s21
	s_delay_alu instid0(VALU_DEP_1) | instskip(NEXT) | instid1(VALU_DEP_1)
	v_fmac_f32_e32 v2, 0x4f800000, v7
	v_rcp_f32_e32 v2, v2
	s_waitcnt_depctr 0xfff
	v_mul_f32_e32 v2, 0x5f7ffffc, v2
	s_delay_alu instid0(VALU_DEP_1) | instskip(NEXT) | instid1(VALU_DEP_1)
	v_mul_f32_e32 v7, 0x2f800000, v2
	v_trunc_f32_e32 v7, v7
	s_delay_alu instid0(VALU_DEP_1) | instskip(SKIP_1) | instid1(VALU_DEP_2)
	v_fmac_f32_e32 v2, 0xcf800000, v7
	v_cvt_u32_f32_e32 v7, v7
	v_cvt_u32_f32_e32 v2, v2
	s_delay_alu instid0(VALU_DEP_2) | instskip(NEXT) | instid1(VALU_DEP_2)
	v_mul_lo_u32 v8, s2, v7
	v_mul_hi_u32 v9, s2, v2
	v_mul_lo_u32 v10, s22, v2
	s_delay_alu instid0(VALU_DEP_2) | instskip(SKIP_1) | instid1(VALU_DEP_2)
	v_add_nc_u32_e32 v8, v9, v8
	v_mul_lo_u32 v9, s2, v2
	v_add_nc_u32_e32 v8, v8, v10
	s_delay_alu instid0(VALU_DEP_2) | instskip(NEXT) | instid1(VALU_DEP_2)
	v_mul_hi_u32 v10, v2, v9
	v_mul_lo_u32 v11, v2, v8
	v_mul_hi_u32 v12, v2, v8
	v_mul_hi_u32 v13, v7, v9
	v_mul_lo_u32 v9, v7, v9
	v_mul_hi_u32 v14, v7, v8
	v_mul_lo_u32 v8, v7, v8
	v_add_co_u32 v10, vcc_lo, v10, v11
	v_add_co_ci_u32_e32 v11, vcc_lo, 0, v12, vcc_lo
	s_delay_alu instid0(VALU_DEP_2) | instskip(NEXT) | instid1(VALU_DEP_2)
	v_add_co_u32 v9, vcc_lo, v10, v9
	v_add_co_ci_u32_e32 v9, vcc_lo, v11, v13, vcc_lo
	v_add_co_ci_u32_e32 v10, vcc_lo, 0, v14, vcc_lo
	s_delay_alu instid0(VALU_DEP_2) | instskip(NEXT) | instid1(VALU_DEP_2)
	v_add_co_u32 v8, vcc_lo, v9, v8
	v_add_co_ci_u32_e32 v9, vcc_lo, 0, v10, vcc_lo
	s_delay_alu instid0(VALU_DEP_2) | instskip(NEXT) | instid1(VALU_DEP_2)
	v_add_co_u32 v2, vcc_lo, v2, v8
	v_add_co_ci_u32_e32 v7, vcc_lo, v7, v9, vcc_lo
	s_delay_alu instid0(VALU_DEP_2) | instskip(SKIP_1) | instid1(VALU_DEP_3)
	v_mul_hi_u32 v8, s2, v2
	v_mul_lo_u32 v10, s22, v2
	v_mul_lo_u32 v9, s2, v7
	s_delay_alu instid0(VALU_DEP_1) | instskip(SKIP_1) | instid1(VALU_DEP_2)
	v_add_nc_u32_e32 v8, v8, v9
	v_mul_lo_u32 v9, s2, v2
	v_add_nc_u32_e32 v8, v8, v10
	s_delay_alu instid0(VALU_DEP_2) | instskip(NEXT) | instid1(VALU_DEP_2)
	v_mul_hi_u32 v10, v2, v9
	v_mul_lo_u32 v11, v2, v8
	v_mul_hi_u32 v12, v2, v8
	v_mul_hi_u32 v13, v7, v9
	v_mul_lo_u32 v9, v7, v9
	v_mul_hi_u32 v14, v7, v8
	v_mul_lo_u32 v8, v7, v8
	v_add_co_u32 v10, vcc_lo, v10, v11
	v_add_co_ci_u32_e32 v11, vcc_lo, 0, v12, vcc_lo
	s_delay_alu instid0(VALU_DEP_2) | instskip(NEXT) | instid1(VALU_DEP_2)
	v_add_co_u32 v9, vcc_lo, v10, v9
	v_add_co_ci_u32_e32 v9, vcc_lo, v11, v13, vcc_lo
	v_add_co_ci_u32_e32 v10, vcc_lo, 0, v14, vcc_lo
	s_delay_alu instid0(VALU_DEP_2) | instskip(NEXT) | instid1(VALU_DEP_2)
	v_add_co_u32 v8, vcc_lo, v9, v8
	v_add_co_ci_u32_e32 v9, vcc_lo, 0, v10, vcc_lo
	s_delay_alu instid0(VALU_DEP_2) | instskip(NEXT) | instid1(VALU_DEP_2)
	v_add_co_u32 v2, vcc_lo, v2, v8
	v_add_co_ci_u32_e32 v13, vcc_lo, v7, v9, vcc_lo
	s_delay_alu instid0(VALU_DEP_2) | instskip(SKIP_1) | instid1(VALU_DEP_3)
	v_mul_hi_u32 v14, v5, v2
	v_mad_u64_u32 v[9:10], null, v6, v2, 0
	v_mad_u64_u32 v[7:8], null, v5, v13, 0
	;; [unrolled: 1-line block ×3, first 2 shown]
	s_delay_alu instid0(VALU_DEP_2) | instskip(NEXT) | instid1(VALU_DEP_3)
	v_add_co_u32 v2, vcc_lo, v14, v7
	v_add_co_ci_u32_e32 v7, vcc_lo, 0, v8, vcc_lo
	s_delay_alu instid0(VALU_DEP_2) | instskip(NEXT) | instid1(VALU_DEP_2)
	v_add_co_u32 v2, vcc_lo, v2, v9
	v_add_co_ci_u32_e32 v2, vcc_lo, v7, v10, vcc_lo
	v_add_co_ci_u32_e32 v7, vcc_lo, 0, v12, vcc_lo
	s_delay_alu instid0(VALU_DEP_2) | instskip(NEXT) | instid1(VALU_DEP_2)
	v_add_co_u32 v2, vcc_lo, v2, v11
	v_add_co_ci_u32_e32 v9, vcc_lo, 0, v7, vcc_lo
	s_delay_alu instid0(VALU_DEP_2) | instskip(SKIP_1) | instid1(VALU_DEP_3)
	v_mul_lo_u32 v10, s21, v2
	v_mad_u64_u32 v[7:8], null, s20, v2, 0
	v_mul_lo_u32 v11, s20, v9
	s_delay_alu instid0(VALU_DEP_2) | instskip(NEXT) | instid1(VALU_DEP_2)
	v_sub_co_u32 v7, vcc_lo, v5, v7
	v_add3_u32 v8, v8, v11, v10
	s_delay_alu instid0(VALU_DEP_1) | instskip(NEXT) | instid1(VALU_DEP_1)
	v_sub_nc_u32_e32 v10, v6, v8
	v_subrev_co_ci_u32_e64 v10, s2, s21, v10, vcc_lo
	v_add_co_u32 v11, s2, v2, 2
	s_delay_alu instid0(VALU_DEP_1) | instskip(SKIP_3) | instid1(VALU_DEP_3)
	v_add_co_ci_u32_e64 v12, s2, 0, v9, s2
	v_sub_co_u32 v13, s2, v7, s20
	v_sub_co_ci_u32_e32 v8, vcc_lo, v6, v8, vcc_lo
	v_subrev_co_ci_u32_e64 v10, s2, 0, v10, s2
	v_cmp_le_u32_e32 vcc_lo, s20, v13
	s_delay_alu instid0(VALU_DEP_3) | instskip(SKIP_1) | instid1(VALU_DEP_4)
	v_cmp_eq_u32_e64 s2, s21, v8
	v_cndmask_b32_e64 v13, 0, -1, vcc_lo
	v_cmp_le_u32_e32 vcc_lo, s21, v10
	v_cndmask_b32_e64 v14, 0, -1, vcc_lo
	v_cmp_le_u32_e32 vcc_lo, s20, v7
	;; [unrolled: 2-line block ×3, first 2 shown]
	v_cndmask_b32_e64 v15, 0, -1, vcc_lo
	v_cmp_eq_u32_e32 vcc_lo, s21, v10
	s_delay_alu instid0(VALU_DEP_2) | instskip(SKIP_3) | instid1(VALU_DEP_3)
	v_cndmask_b32_e64 v7, v15, v7, s2
	v_cndmask_b32_e32 v10, v14, v13, vcc_lo
	v_add_co_u32 v13, vcc_lo, v2, 1
	v_add_co_ci_u32_e32 v14, vcc_lo, 0, v9, vcc_lo
	v_cmp_ne_u32_e32 vcc_lo, 0, v10
	s_delay_alu instid0(VALU_DEP_2) | instskip(NEXT) | instid1(VALU_DEP_4)
	v_cndmask_b32_e32 v8, v14, v12, vcc_lo
	v_cndmask_b32_e32 v10, v13, v11, vcc_lo
	v_cmp_ne_u32_e32 vcc_lo, 0, v7
	s_delay_alu instid0(VALU_DEP_2)
	v_dual_cndmask_b32 v7, v2, v10 :: v_dual_cndmask_b32 v8, v9, v8
.LBB0_4:                                ;   in Loop: Header=BB0_2 Depth=1
	s_and_not1_saveexec_b32 s2, s3
	s_cbranch_execz .LBB0_6
; %bb.5:                                ;   in Loop: Header=BB0_2 Depth=1
	v_cvt_f32_u32_e32 v2, s20
	s_sub_i32 s3, 0, s20
	s_delay_alu instid0(VALU_DEP_1) | instskip(SKIP_2) | instid1(VALU_DEP_1)
	v_rcp_iflag_f32_e32 v2, v2
	s_waitcnt_depctr 0xfff
	v_mul_f32_e32 v2, 0x4f7ffffe, v2
	v_cvt_u32_f32_e32 v2, v2
	s_delay_alu instid0(VALU_DEP_1) | instskip(NEXT) | instid1(VALU_DEP_1)
	v_mul_lo_u32 v7, s3, v2
	v_mul_hi_u32 v7, v2, v7
	s_delay_alu instid0(VALU_DEP_1) | instskip(NEXT) | instid1(VALU_DEP_1)
	v_add_nc_u32_e32 v2, v2, v7
	v_mul_hi_u32 v2, v5, v2
	s_delay_alu instid0(VALU_DEP_1) | instskip(SKIP_1) | instid1(VALU_DEP_2)
	v_mul_lo_u32 v7, v2, s20
	v_add_nc_u32_e32 v8, 1, v2
	v_sub_nc_u32_e32 v7, v5, v7
	s_delay_alu instid0(VALU_DEP_1) | instskip(SKIP_1) | instid1(VALU_DEP_2)
	v_subrev_nc_u32_e32 v9, s20, v7
	v_cmp_le_u32_e32 vcc_lo, s20, v7
	v_dual_cndmask_b32 v7, v7, v9 :: v_dual_cndmask_b32 v2, v2, v8
	s_delay_alu instid0(VALU_DEP_1) | instskip(NEXT) | instid1(VALU_DEP_2)
	v_cmp_le_u32_e32 vcc_lo, s20, v7
	v_add_nc_u32_e32 v8, 1, v2
	s_delay_alu instid0(VALU_DEP_1)
	v_dual_cndmask_b32 v7, v2, v8 :: v_dual_mov_b32 v8, v1
.LBB0_6:                                ;   in Loop: Header=BB0_2 Depth=1
	s_or_b32 exec_lo, exec_lo, s2
	s_load_b64 s[2:3], s[14:15], 0x0
	s_delay_alu instid0(VALU_DEP_1) | instskip(NEXT) | instid1(VALU_DEP_2)
	v_mul_lo_u32 v2, v8, s20
	v_mul_lo_u32 v11, v7, s21
	v_mad_u64_u32 v[9:10], null, v7, s20, 0
	s_add_u32 s18, s18, 1
	s_addc_u32 s19, s19, 0
	s_add_u32 s14, s14, 8
	s_addc_u32 s15, s15, 0
	;; [unrolled: 2-line block ×3, first 2 shown]
	s_delay_alu instid0(VALU_DEP_1) | instskip(SKIP_1) | instid1(VALU_DEP_2)
	v_add3_u32 v2, v10, v11, v2
	v_sub_co_u32 v9, vcc_lo, v5, v9
	v_sub_co_ci_u32_e32 v2, vcc_lo, v6, v2, vcc_lo
	s_waitcnt lgkmcnt(0)
	s_delay_alu instid0(VALU_DEP_2) | instskip(NEXT) | instid1(VALU_DEP_2)
	v_mul_lo_u32 v10, s3, v9
	v_mul_lo_u32 v2, s2, v2
	v_mad_u64_u32 v[5:6], null, s2, v9, v[3:4]
	v_cmp_ge_u64_e64 s2, s[18:19], s[6:7]
	s_delay_alu instid0(VALU_DEP_1) | instskip(NEXT) | instid1(VALU_DEP_2)
	s_and_b32 vcc_lo, exec_lo, s2
	v_add3_u32 v4, v10, v6, v2
	s_delay_alu instid0(VALU_DEP_3)
	v_mov_b32_e32 v3, v5
	s_cbranch_vccnz .LBB0_9
; %bb.7:                                ;   in Loop: Header=BB0_2 Depth=1
	v_dual_mov_b32 v5, v7 :: v_dual_mov_b32 v6, v8
	s_branch .LBB0_2
.LBB0_8:
	v_dual_mov_b32 v8, v6 :: v_dual_mov_b32 v7, v5
.LBB0_9:
	s_lshl_b64 s[2:3], s[6:7], 3
	v_mul_hi_u32 v5, 0x4ec4ec5, v0
	s_add_u32 s2, s12, s2
	s_addc_u32 s3, s13, s3
                                        ; implicit-def: $vgpr50_vgpr51
                                        ; implicit-def: $vgpr46_vgpr47
                                        ; implicit-def: $vgpr30_vgpr31
                                        ; implicit-def: $vgpr34_vgpr35
                                        ; implicit-def: $vgpr18_vgpr19
                                        ; implicit-def: $vgpr10_vgpr11
                                        ; implicit-def: $vgpr22_vgpr23
                                        ; implicit-def: $vgpr26_vgpr27
                                        ; implicit-def: $vgpr38_vgpr39
                                        ; implicit-def: $vgpr42_vgpr43
                                        ; implicit-def: $vgpr14_vgpr15
	s_load_b64 s[2:3], s[2:3], 0x0
	s_load_b64 s[0:1], s[0:1], 0x20
	s_waitcnt lgkmcnt(0)
	v_mul_lo_u32 v6, s2, v8
	v_mul_lo_u32 v9, s3, v7
	v_mad_u64_u32 v[1:2], null, s2, v7, v[3:4]
	v_mul_u32_u24_e32 v3, 52, v5
	v_cmp_gt_u64_e32 vcc_lo, s[0:1], v[7:8]
	s_delay_alu instid0(VALU_DEP_2) | instskip(NEXT) | instid1(VALU_DEP_4)
	v_sub_nc_u32_e32 v52, v0, v3
	v_add3_u32 v2, v9, v2, v6
                                        ; implicit-def: $vgpr6_vgpr7
	s_delay_alu instid0(VALU_DEP_2) | instskip(NEXT) | instid1(VALU_DEP_2)
	v_cmp_gt_u32_e64 s0, 48, v52
	v_lshlrev_b64 v[54:55], 4, v[1:2]
                                        ; implicit-def: $vgpr2_vgpr3
	s_delay_alu instid0(VALU_DEP_2) | instskip(NEXT) | instid1(SALU_CYCLE_1)
	s_and_b32 s1, vcc_lo, s0
	s_and_saveexec_b32 s2, s1
	s_cbranch_execz .LBB0_11
; %bb.10:
	v_add_nc_u32_e32 v11, 48, v52
	v_mad_u64_u32 v[0:1], null, s8, v52, 0
	v_add_nc_u32_e32 v13, 0x90, v52
	v_add_co_u32 v21, s1, s10, v54
	s_delay_alu instid0(VALU_DEP_4) | instskip(SKIP_1) | instid1(VALU_DEP_4)
	v_mad_u64_u32 v[2:3], null, s8, v11, 0
	v_add_nc_u32_e32 v12, 0x60, v52
	v_mad_u64_u32 v[7:8], null, s8, v13, 0
	v_or_b32_e32 v16, 0xc0, v52
	v_add_co_ci_u32_e64 v22, s1, s11, v55, s1
	v_mad_u64_u32 v[4:5], null, s9, v52, v[1:2]
	v_mov_b32_e32 v1, v3
	v_mad_u64_u32 v[5:6], null, s8, v12, 0
	v_or_b32_e32 v56, 0x240, v52
	v_add_nc_u32_e32 v19, 0x150, v52
	s_delay_alu instid0(VALU_DEP_4) | instskip(SKIP_3) | instid1(VALU_DEP_4)
	v_mad_u64_u32 v[9:10], null, s9, v11, v[1:2]
	v_mov_b32_e32 v1, v4
	v_dual_mov_b32 v4, v6 :: v_dual_add_nc_u32 v23, 0x1e0, v52
	v_dual_mov_b32 v6, v8 :: v_dual_add_nc_u32 v53, 0x210, v52
	v_mov_b32_e32 v3, v9
	s_delay_alu instid0(VALU_DEP_3) | instskip(NEXT) | instid1(VALU_DEP_3)
	v_mad_u64_u32 v[8:9], null, s9, v12, v[4:5]
	v_mad_u64_u32 v[9:10], null, s9, v13, v[6:7]
	;; [unrolled: 1-line block ×3, first 2 shown]
	s_delay_alu instid0(VALU_DEP_3) | instskip(SKIP_1) | instid1(VALU_DEP_4)
	v_dual_mov_b32 v6, v8 :: v_dual_add_nc_u32 v17, 0xf0, v52
	v_lshlrev_b64 v[2:3], 4, v[2:3]
	v_mov_b32_e32 v8, v9
	v_lshlrev_b64 v[0:1], 4, v[0:1]
	s_delay_alu instid0(VALU_DEP_1) | instskip(NEXT) | instid1(VALU_DEP_1)
	v_add_co_u32 v0, s1, v21, v0
	v_add_co_ci_u32_e64 v1, s1, v22, v1, s1
	v_add_co_u32 v2, s1, v21, v2
	s_delay_alu instid0(VALU_DEP_1)
	v_add_co_ci_u32_e64 v3, s1, v22, v3, s1
	s_clause 0x1
	global_load_b128 v[12:15], v[0:1], off
	global_load_b128 v[48:51], v[2:3], off
	v_mov_b32_e32 v2, v11
	v_mad_u64_u32 v[3:4], null, s8, v17, 0
	v_lshlrev_b64 v[0:1], 4, v[5:6]
	v_lshlrev_b64 v[5:6], 4, v[7:8]
	s_delay_alu instid0(VALU_DEP_3) | instskip(NEXT) | instid1(VALU_DEP_3)
	v_mad_u64_u32 v[7:8], null, s9, v16, v[2:3]
	v_add_co_u32 v0, s1, v21, v0
	v_add_nc_u32_e32 v18, 0x120, v52
	v_mov_b32_e32 v2, v4
	v_add_co_ci_u32_e64 v1, s1, v22, v1, s1
	v_add_co_u32 v4, s1, v21, v5
	s_delay_alu instid0(VALU_DEP_1)
	v_add_co_ci_u32_e64 v5, s1, v22, v6, s1
	v_mov_b32_e32 v11, v7
	v_mad_u64_u32 v[8:9], null, s8, v18, 0
	v_mad_u64_u32 v[6:7], null, s9, v17, v[2:3]
	;; [unrolled: 1-line block ×3, first 2 shown]
	s_clause 0x1
	global_load_b128 v[44:47], v[0:1], off
	global_load_b128 v[40:43], v[4:5], off
	v_lshlrev_b64 v[0:1], 4, v[10:11]
	v_mov_b32_e32 v2, v9
	v_mov_b32_e32 v4, v6
	s_delay_alu instid0(VALU_DEP_2) | instskip(NEXT) | instid1(VALU_DEP_2)
	v_mad_u64_u32 v[9:10], null, s9, v18, v[2:3]
	v_lshlrev_b64 v[3:4], 4, v[3:4]
	v_mov_b32_e32 v2, v17
	v_or_b32_e32 v10, 0x180, v52
	v_add_co_u32 v0, s1, v21, v0
	s_delay_alu instid0(VALU_DEP_1) | instskip(NEXT) | instid1(VALU_DEP_4)
	v_add_co_ci_u32_e64 v1, s1, v22, v1, s1
	v_mad_u64_u32 v[5:6], null, s9, v19, v[2:3]
	v_lshlrev_b64 v[6:7], 4, v[8:9]
	v_mad_u64_u32 v[8:9], null, s8, v10, 0
	v_add_co_u32 v2, s1, v21, v3
	s_delay_alu instid0(VALU_DEP_1)
	v_add_co_ci_u32_e64 v3, s1, v22, v4, s1
	v_mov_b32_e32 v17, v5
	s_clause 0x1
	global_load_b128 v[36:39], v[0:1], off
	global_load_b128 v[28:31], v[2:3], off
	v_mov_b32_e32 v2, v9
	v_add_co_u32 v0, s1, v21, v6
	v_lshlrev_b64 v[3:4], 4, v[16:17]
	v_add_co_ci_u32_e64 v1, s1, v22, v7, s1
	v_mad_u64_u32 v[16:17], null, s8, v53, 0
	s_delay_alu instid0(VALU_DEP_3) | instskip(SKIP_3) | instid1(VALU_DEP_1)
	v_mad_u64_u32 v[5:6], null, s9, v10, v[2:3]
	v_add_nc_u32_e32 v20, 0x1b0, v52
	v_mad_u64_u32 v[10:11], null, s8, v23, 0
	v_add_co_u32 v2, s1, v21, v3
	v_add_co_ci_u32_e64 v3, s1, v22, v4, s1
	v_mov_b32_e32 v9, v5
	v_mad_u64_u32 v[6:7], null, s8, v20, 0
	v_mov_b32_e32 v5, v11
	s_clause 0x1
	global_load_b128 v[32:35], v[0:1], off
	global_load_b128 v[24:27], v[2:3], off
	v_lshlrev_b64 v[1:2], 4, v[8:9]
	v_mov_b32_e32 v4, v7
	s_delay_alu instid0(VALU_DEP_1) | instskip(SKIP_2) | instid1(VALU_DEP_3)
	v_mad_u64_u32 v[18:19], null, s9, v20, v[4:5]
	v_mad_u64_u32 v[19:20], null, s9, v23, v[5:6]
	;; [unrolled: 1-line block ×3, first 2 shown]
	v_dual_mov_b32 v0, v17 :: v_dual_mov_b32 v7, v18
	s_delay_alu instid0(VALU_DEP_3) | instskip(NEXT) | instid1(VALU_DEP_2)
	v_mov_b32_e32 v11, v19
	v_mad_u64_u32 v[8:9], null, s9, v53, v[0:1]
	s_delay_alu instid0(VALU_DEP_4) | instskip(SKIP_4) | instid1(VALU_DEP_4)
	v_mov_b32_e32 v0, v5
	v_add_co_u32 v1, s1, v21, v1
	v_lshlrev_b64 v[5:6], 4, v[6:7]
	v_add_co_ci_u32_e64 v2, s1, v22, v2, s1
	v_mov_b32_e32 v17, v8
	v_mad_u64_u32 v[18:19], null, s9, v56, v[0:1]
	v_lshlrev_b64 v[9:10], 4, v[10:11]
	v_add_co_u32 v7, s1, v21, v5
	s_delay_alu instid0(VALU_DEP_4) | instskip(SKIP_3) | instid1(VALU_DEP_1)
	v_lshlrev_b64 v[16:17], 4, v[16:17]
	v_add_co_ci_u32_e64 v8, s1, v22, v6, s1
	v_mov_b32_e32 v5, v18
	v_add_co_u32 v9, s1, v21, v9
	v_add_co_ci_u32_e64 v10, s1, v22, v10, s1
	s_delay_alu instid0(VALU_DEP_3) | instskip(SKIP_1) | instid1(VALU_DEP_1)
	v_lshlrev_b64 v[3:4], 4, v[4:5]
	v_add_co_u32 v5, s1, v21, v16
	v_add_co_ci_u32_e64 v6, s1, v22, v17, s1
	s_delay_alu instid0(VALU_DEP_3) | instskip(NEXT) | instid1(VALU_DEP_1)
	v_add_co_u32 v56, s1, v21, v3
	v_add_co_ci_u32_e64 v57, s1, v22, v4, s1
	s_clause 0x4
	global_load_b128 v[20:23], v[1:2], off
	global_load_b128 v[16:19], v[7:8], off
	;; [unrolled: 1-line block ×5, first 2 shown]
.LBB0_11:
	s_or_b32 exec_lo, exec_lo, s2
	s_and_saveexec_b32 s33, s0
	s_cbranch_execz .LBB0_13
; %bb.12:
	s_waitcnt vmcnt(11)
	v_add_f64 v[62:63], v[50:51], v[14:15]
	v_add_f64 v[66:67], v[48:49], v[12:13]
	s_waitcnt vmcnt(0)
	v_add_f64 v[78:79], v[48:49], -v[0:1]
	v_add_f64 v[86:87], v[50:51], -v[2:3]
	s_mov_b32 s2, 0x24c2f84
	s_mov_b32 s0, 0x4bc48dbf
	v_add_f64 v[74:75], v[44:45], -v[4:5]
	v_add_f64 v[76:77], v[46:47], -v[6:7]
	;; [unrolled: 1-line block ×10, first 2 shown]
	s_mov_b32 s3, 0xbfe5384d
	s_mov_b32 s1, 0xbfcea1e5
	v_add_f64 v[92:93], v[50:51], v[2:3]
	v_add_f64 v[94:95], v[48:49], v[0:1]
	v_add_f64 v[70:71], v[18:19], v[38:39]
	v_add_f64 v[68:69], v[16:17], v[36:37]
	s_mov_b32 s35, 0x3fddbe06
	s_mov_b32 s34, 0x4267c47c
	;; [unrolled: 1-line block ×14, first 2 shown]
	v_add_f64 v[96:97], v[10:11], v[42:43]
	v_add_f64 v[98:99], v[8:9], v[40:41]
	;; [unrolled: 1-line block ×4, first 2 shown]
	v_mul_f64 v[108:109], v[78:79], s[0:1]
	v_mul_f64 v[112:113], v[78:79], s[2:3]
	;; [unrolled: 1-line block ×4, first 2 shown]
	s_mov_b32 s39, 0x3fe5384d
	s_mov_b32 s41, 0x3fedeba7
	;; [unrolled: 1-line block ×6, first 2 shown]
	v_mul_f64 v[100:101], v[74:75], s[34:35]
	v_mul_f64 v[102:103], v[76:77], s[34:35]
	;; [unrolled: 1-line block ×8, first 2 shown]
	v_add_f64 v[66:67], v[30:31], v[22:23]
	v_add_f64 v[62:63], v[28:29], v[20:21]
	;; [unrolled: 1-line block ×4, first 2 shown]
	v_mul_f64 v[116:117], v[78:79], s[24:25]
	v_mul_f64 v[120:121], v[78:79], s[30:31]
	;; [unrolled: 1-line block ×14, first 2 shown]
	v_add_f64 v[88:89], v[42:43], v[88:89]
	v_add_f64 v[90:91], v[40:41], v[90:91]
	v_mul_f64 v[42:43], v[58:59], s[34:35]
	v_mul_f64 v[40:41], v[56:57], s[34:35]
	s_mov_b32 s35, 0xbfddbe06
	v_fma_f64 v[174:175], v[92:93], s[12:13], -v[108:109]
	v_mul_f64 v[78:79], v[78:79], s[34:35]
	v_mul_f64 v[86:87], v[86:87], s[34:35]
	v_fma_f64 v[108:109], v[92:93], s[12:13], v[108:109]
	v_fma_f64 v[176:177], v[92:93], s[14:15], -v[112:113]
	v_fma_f64 v[112:113], v[92:93], s[14:15], v[112:113]
	v_fma_f64 v[182:183], v[94:95], s[12:13], v[124:125]
	v_fma_f64 v[124:125], v[94:95], s[12:13], -v[124:125]
	v_fma_f64 v[186:187], v[94:95], s[14:15], v[128:129]
	s_mov_b32 s22, 0xebaa3ed8
	s_mov_b32 s20, 0xb2365da1
	;; [unrolled: 1-line block ×8, first 2 shown]
	v_add_f64 v[50:51], v[34:35], v[26:27]
	v_mul_f64 v[158:159], v[76:77], s[38:39]
	v_mul_f64 v[160:161], v[76:77], s[0:1]
	;; [unrolled: 1-line block ×6, first 2 shown]
	v_fma_f64 v[178:179], v[92:93], s[20:21], -v[116:117]
	v_fma_f64 v[116:117], v[92:93], s[20:21], v[116:117]
	v_fma_f64 v[180:181], v[92:93], s[22:23], -v[120:121]
	v_fma_f64 v[120:121], v[92:93], s[22:23], v[120:121]
	;; [unrolled: 2-line block ×4, first 2 shown]
	v_fma_f64 v[130:131], v[94:95], s[20:21], -v[130:131]
	v_add_f64 v[38:39], v[38:39], v[88:89]
	v_add_f64 v[36:37], v[36:37], v[90:91]
	v_mul_f64 v[88:89], v[74:75], s[0:1]
	v_mul_f64 v[90:91], v[74:75], s[24:25]
	;; [unrolled: 1-line block ×3, first 2 shown]
	v_fma_f64 v[190:191], v[94:95], s[22:23], v[132:133]
	v_fma_f64 v[132:133], v[94:95], s[22:23], -v[132:133]
	v_fma_f64 v[192:193], v[94:95], s[18:19], v[134:135]
	v_fma_f64 v[134:135], v[94:95], s[18:19], -v[134:135]
	v_fma_f64 v[194:195], v[96:97], s[16:17], -v[110:111]
	v_fma_f64 v[110:111], v[96:97], s[16:17], v[110:111]
	v_fma_f64 v[196:197], v[96:97], s[20:21], -v[148:149]
	v_fma_f64 v[148:149], v[96:97], s[20:21], v[148:149]
	;; [unrolled: 2-line block ×7, first 2 shown]
	v_fma_f64 v[78:79], v[92:93], s[16:17], v[78:79]
	v_fma_f64 v[86:87], v[94:95], s[16:17], -v[86:87]
	v_add_f64 v[174:175], v[174:175], v[14:15]
	v_add_f64 v[182:183], v[182:183], v[12:13]
	v_fma_f64 v[212:213], v[44:45], s[22:23], v[156:157]
	v_add_f64 v[108:109], v[108:109], v[14:15]
	v_add_f64 v[124:125], v[124:125], v[12:13]
	;; [unrolled: 1-line block ×4, first 2 shown]
	s_mov_b32 s37, 0x3fcea1e5
	s_mov_b32 s36, s0
	v_add_f64 v[48:49], v[32:33], v[24:25]
	v_mul_f64 v[136:137], v[84:85], s[6:7]
	v_mul_f64 v[138:139], v[84:85], s[36:37]
	;; [unrolled: 1-line block ×3, first 2 shown]
	v_add_f64 v[30:31], v[30:31], v[38:39]
	v_add_f64 v[28:29], v[28:29], v[36:37]
	v_fma_f64 v[36:37], v[96:97], s[14:15], -v[144:145]
	v_fma_f64 v[38:39], v[96:97], s[14:15], v[144:145]
	v_fma_f64 v[144:145], v[96:97], s[18:19], -v[146:147]
	v_fma_f64 v[146:147], v[96:97], s[18:19], v[146:147]
	;; [unrolled: 2-line block ×6, first 2 shown]
	v_fma_f64 v[74:75], v[44:45], s[16:17], v[102:103]
	v_fma_f64 v[102:103], v[44:45], s[16:17], -v[102:103]
	v_mul_f64 v[170:171], v[82:83], s[0:1]
	v_mul_f64 v[82:83], v[82:83], s[30:31]
	;; [unrolled: 1-line block ×3, first 2 shown]
	v_fma_f64 v[156:157], v[44:45], s[22:23], -v[156:157]
	v_add_f64 v[128:129], v[128:129], v[12:13]
	v_add_f64 v[178:179], v[178:179], v[14:15]
	;; [unrolled: 1-line block ×16, first 2 shown]
	v_fma_f64 v[86:87], v[44:45], s[20:21], -v[162:163]
	v_add_f64 v[186:187], v[212:213], v[186:187]
	v_add_f64 v[30:31], v[34:35], v[30:31]
	;; [unrolled: 1-line block ×4, first 2 shown]
	v_fma_f64 v[32:33], v[44:45], s[14:15], v[158:159]
	v_fma_f64 v[158:159], v[44:45], s[14:15], -v[158:159]
	v_fma_f64 v[176:177], v[44:45], s[12:13], v[160:161]
	v_fma_f64 v[160:161], v[44:45], s[12:13], -v[160:161]
	v_add_f64 v[14:15], v[78:79], v[14:15]
	v_fma_f64 v[78:79], v[44:45], s[20:21], v[162:163]
	v_fma_f64 v[162:163], v[44:45], s[18:19], v[76:77]
	v_fma_f64 v[44:45], v[44:45], s[18:19], -v[76:77]
	v_mul_f64 v[76:77], v[72:73], s[36:37]
	v_add_f64 v[96:97], v[96:97], v[174:175]
	v_add_f64 v[100:101], v[100:101], v[108:109]
	;; [unrolled: 1-line block ×3, first 2 shown]
	v_fma_f64 v[108:109], v[98:99], s[14:15], v[164:165]
	v_add_f64 v[102:103], v[102:103], v[124:125]
	v_fma_f64 v[164:165], v[98:99], s[14:15], -v[164:165]
	v_add_f64 v[112:113], v[152:153], v[112:113]
	v_mul_f64 v[140:141], v[84:85], s[30:31]
	v_mul_f64 v[142:143], v[84:85], s[38:39]
	;; [unrolled: 1-line block ×5, first 2 shown]
	v_fma_f64 v[212:213], v[98:99], s[16:17], v[114:115]
	v_fma_f64 v[114:115], v[98:99], s[16:17], -v[114:115]
	v_fma_f64 v[152:153], v[98:99], s[20:21], v[168:169]
	v_fma_f64 v[168:169], v[98:99], s[20:21], -v[168:169]
	v_add_f64 v[128:129], v[156:157], v[128:129]
	v_add_f64 v[178:179], v[204:205], v[178:179]
	;; [unrolled: 1-line block ×5, first 2 shown]
	v_mul_f64 v[124:125], v[64:65], s[24:25]
	v_add_f64 v[94:95], v[94:95], v[208:209]
	v_mul_f64 v[72:73], v[72:73], s[24:25]
	v_add_f64 v[86:87], v[86:87], v[134:135]
	;; [unrolled: 2-line block ×3, first 2 shown]
	v_add_f64 v[24:25], v[24:25], v[28:29]
	v_add_f64 v[34:35], v[202:203], v[34:35]
	v_fma_f64 v[202:203], v[98:99], s[18:19], v[166:167]
	v_fma_f64 v[166:167], v[98:99], s[18:19], -v[166:167]
	v_fma_f64 v[28:29], v[98:99], s[12:13], v[170:171]
	v_fma_f64 v[30:31], v[98:99], s[12:13], -v[170:171]
	;; [unrolled: 2-line block ×3, first 2 shown]
	v_mul_f64 v[98:99], v[60:61], s[24:25]
	v_add_f64 v[32:33], v[32:33], v[188:189]
	v_add_f64 v[130:131], v[158:159], v[130:131]
	;; [unrolled: 1-line block ×4, first 2 shown]
	v_fma_f64 v[96:97], v[70:71], s[18:19], -v[136:137]
	v_add_f64 v[74:75], v[108:109], v[74:75]
	v_fma_f64 v[108:109], v[70:71], s[12:13], -v[138:139]
	v_fma_f64 v[138:139], v[70:71], s[12:13], v[138:139]
	v_add_f64 v[102:103], v[164:165], v[102:103]
	v_add_f64 v[112:113], v[146:147], v[112:113]
	v_fma_f64 v[146:147], v[68:69], s[12:13], v[76:77]
	v_add_f64 v[78:79], v[78:79], v[192:193]
	v_fma_f64 v[136:137], v[70:71], s[18:19], v[136:137]
	v_add_f64 v[38:39], v[38:39], v[100:101]
	v_add_f64 v[14:15], v[46:47], v[14:15]
	;; [unrolled: 1-line block ×4, first 2 shown]
	v_mul_f64 v[188:189], v[60:61], s[36:37]
	v_mul_f64 v[154:155], v[64:65], s[28:29]
	;; [unrolled: 1-line block ×5, first 2 shown]
	v_fma_f64 v[100:101], v[70:71], s[22:23], -v[140:141]
	v_fma_f64 v[140:141], v[70:71], s[22:23], v[140:141]
	v_fma_f64 v[164:165], v[70:71], s[16:17], -v[118:119]
	v_fma_f64 v[118:119], v[70:71], s[16:17], v[118:119]
	v_fma_f64 v[76:77], v[68:69], s[12:13], -v[76:77]
	v_fma_f64 v[192:193], v[66:67], s[16:17], -v[104:105]
	v_add_f64 v[22:23], v[22:23], v[26:27]
	v_add_f64 v[20:21], v[20:21], v[24:25]
	;; [unrolled: 1-line block ×3, first 2 shown]
	v_fma_f64 v[144:145], v[68:69], s[18:19], v[172:173]
	v_add_f64 v[186:187], v[202:203], v[186:187]
	v_fma_f64 v[172:173], v[68:69], s[18:19], -v[172:173]
	v_add_f64 v[24:25], v[88:89], v[120:121]
	v_add_f64 v[26:27], v[160:161], v[132:133]
	;; [unrolled: 1-line block ×3, first 2 shown]
	v_fma_f64 v[202:203], v[70:71], s[14:15], -v[142:143]
	v_fma_f64 v[92:93], v[68:69], s[22:23], v[174:175]
	v_fma_f64 v[120:121], v[68:69], s[22:23], -v[174:175]
	v_fma_f64 v[132:133], v[68:69], s[16:17], v[122:123]
	;; [unrolled: 2-line block ×3, first 2 shown]
	v_fma_f64 v[184:185], v[62:63], s[20:21], v[98:99]
	v_fma_f64 v[98:99], v[62:63], s[20:21], -v[98:99]
	v_fma_f64 v[126:127], v[62:63], s[16:17], v[106:107]
	v_fma_f64 v[104:105], v[66:67], s[16:17], v[104:105]
	v_add_f64 v[44:45], v[166:167], v[128:129]
	v_add_f64 v[46:47], v[194:195], v[178:179]
	;; [unrolled: 1-line block ×8, first 2 shown]
	v_fma_f64 v[130:131], v[70:71], s[20:21], -v[84:85]
	v_add_f64 v[90:91], v[150:151], v[90:91]
	v_add_f64 v[30:31], v[30:31], v[86:87]
	v_fma_f64 v[174:175], v[66:67], s[20:21], -v[124:125]
	v_fma_f64 v[124:125], v[66:67], s[20:21], v[124:125]
	v_add_f64 v[38:39], v[136:137], v[38:39]
	v_add_f64 v[86:87], v[200:201], v[94:95]
	v_mul_f64 v[64:65], v[64:65], s[2:3]
	v_mul_f64 v[60:61], v[60:61], s[2:3]
	v_fma_f64 v[136:137], v[68:69], s[20:21], v[72:73]
	v_add_f64 v[14:15], v[80:81], v[14:15]
	v_add_f64 v[18:19], v[18:19], v[22:23]
	;; [unrolled: 1-line block ×5, first 2 shown]
	v_fma_f64 v[112:113], v[70:71], s[14:15], v[142:143]
	v_add_f64 v[96:97], v[172:173], v[102:103]
	v_add_f64 v[102:103], v[146:147], v[186:187]
	v_add_f64 v[20:21], v[148:149], v[24:25]
	v_add_f64 v[22:23], v[168:169], v[26:27]
	v_add_f64 v[24:25], v[198:199], v[88:89]
	v_add_f64 v[26:27], v[28:29], v[78:79]
	v_fma_f64 v[70:71], v[70:71], s[20:21], v[84:85]
	v_fma_f64 v[84:85], v[68:69], s[14:15], -v[182:183]
	v_fma_f64 v[68:69], v[68:69], s[20:21], -v[72:73]
	v_add_f64 v[12:13], v[82:83], v[12:13]
	v_add_f64 v[94:95], v[170:171], v[134:135]
	v_mul_f64 v[78:79], v[58:59], s[24:25]
	v_mul_f64 v[28:29], v[56:57], s[26:27]
	;; [unrolled: 1-line block ×3, first 2 shown]
	v_add_f64 v[44:45], v[76:77], v[44:45]
	v_add_f64 v[46:47], v[100:101], v[46:47]
	;; [unrolled: 1-line block ×7, first 2 shown]
	v_fma_f64 v[110:111], v[62:63], s[18:19], v[158:159]
	v_fma_f64 v[114:115], v[66:67], s[18:19], v[154:155]
	v_fma_f64 v[116:117], v[62:63], s[18:19], -v[158:159]
	v_fma_f64 v[120:121], v[62:63], s[22:23], v[190:191]
	v_fma_f64 v[106:107], v[62:63], s[16:17], -v[106:107]
	v_mul_f64 v[156:157], v[58:59], s[26:27]
	v_add_f64 v[38:39], v[124:125], v[38:39]
	v_mul_f64 v[124:125], v[58:59], s[2:3]
	v_add_f64 v[86:87], v[130:131], v[86:87]
	;; [unrolled: 2-line block ×3, first 2 shown]
	v_fma_f64 v[128:129], v[66:67], s[14:15], -v[64:65]
	v_add_f64 v[10:11], v[10:11], v[18:19]
	v_add_f64 v[8:9], v[8:9], v[16:17]
	v_fma_f64 v[64:65], v[66:67], s[14:15], v[64:65]
	v_add_f64 v[100:101], v[104:105], v[108:109]
	v_fma_f64 v[104:105], v[62:63], s[12:13], -v[188:189]
	v_add_f64 v[96:97], v[98:99], v[96:97]
	v_add_f64 v[98:99], v[126:127], v[102:103]
	;; [unrolled: 1-line block ×6, first 2 shown]
	v_fma_f64 v[24:25], v[66:67], s[12:13], -v[204:205]
	v_fma_f64 v[26:27], v[62:63], s[12:13], v[188:189]
	v_fma_f64 v[102:103], v[66:67], s[12:13], v[204:205]
	v_fma_f64 v[108:109], v[66:67], s[18:19], -v[154:155]
	v_fma_f64 v[118:119], v[66:67], s[22:23], -v[206:207]
	v_mul_f64 v[122:123], v[58:59], s[6:7]
	v_add_f64 v[90:91], v[112:113], v[90:91]
	v_fma_f64 v[112:113], v[66:67], s[22:23], v[206:207]
	v_add_f64 v[30:31], v[84:85], v[30:31]
	v_mul_f64 v[84:85], v[56:57], s[6:7]
	v_fma_f64 v[126:127], v[62:63], s[22:23], -v[190:191]
	v_mul_f64 v[58:59], v[58:59], s[0:1]
	v_add_f64 v[14:15], v[70:71], v[14:15]
	v_fma_f64 v[70:71], v[62:63], s[14:15], -v[60:61]
	v_mul_f64 v[56:57], v[56:57], s[0:1]
	v_add_f64 v[12:13], v[68:69], v[12:13]
	v_add_f64 v[94:95], v[136:137], v[94:95]
	v_fma_f64 v[60:61], v[62:63], s[14:15], v[60:61]
	v_add_f64 v[34:35], v[192:193], v[34:35]
	v_fma_f64 v[68:69], v[50:51], s[20:21], -v[78:79]
	v_fma_f64 v[66:67], v[48:49], s[22:23], v[28:29]
	v_fma_f64 v[28:29], v[48:49], s[22:23], -v[28:29]
	v_fma_f64 v[62:63], v[48:49], s[20:21], v[88:89]
	v_add_f64 v[44:45], v[106:107], v[44:45]
	v_fma_f64 v[78:79], v[50:51], s[20:21], v[78:79]
	v_fma_f64 v[88:89], v[48:49], s[20:21], -v[88:89]
	v_fma_f64 v[132:133], v[50:51], s[22:23], v[156:157]
	v_fma_f64 v[72:73], v[50:51], s[22:23], -v[156:157]
	v_add_f64 v[36:37], v[174:175], v[36:37]
	v_add_f64 v[74:75], v[184:185], v[74:75]
	;; [unrolled: 1-line block ×5, first 2 shown]
	v_mad_u32_u24 v53, 0xd0, v52, 0
	v_add_f64 v[24:25], v[24:25], v[46:47]
	v_add_f64 v[26:27], v[26:27], v[32:33]
	;; [unrolled: 1-line block ×10, first 2 shown]
	v_fma_f64 v[20:21], v[50:51], s[18:19], -v[122:123]
	v_fma_f64 v[108:109], v[50:51], s[18:19], v[122:123]
	v_add_f64 v[90:91], v[112:113], v[90:91]
	v_fma_f64 v[114:115], v[48:49], s[18:19], v[84:85]
	v_add_f64 v[116:117], v[126:127], v[30:31]
	v_fma_f64 v[118:119], v[50:51], s[16:17], -v[42:43]
	v_fma_f64 v[42:43], v[50:51], s[16:17], v[42:43]
	v_fma_f64 v[120:121], v[48:49], s[16:17], -v[40:41]
	v_fma_f64 v[112:113], v[50:51], s[14:15], v[124:125]
	v_fma_f64 v[122:123], v[48:49], s[14:15], -v[130:131]
	v_fma_f64 v[84:85], v[48:49], s[18:19], -v[84:85]
	;; [unrolled: 1-line block ×3, first 2 shown]
	v_fma_f64 v[124:125], v[48:49], s[14:15], v[130:131]
	v_fma_f64 v[40:41], v[48:49], s[16:17], v[40:41]
	v_fma_f64 v[126:127], v[50:51], s[12:13], -v[58:59]
	v_fma_f64 v[50:51], v[50:51], s[12:13], v[58:59]
	v_add_f64 v[58:59], v[64:65], v[14:15]
	v_fma_f64 v[64:65], v[48:49], s[12:13], -v[56:57]
	v_add_f64 v[70:71], v[70:71], v[12:13]
	v_fma_f64 v[56:57], v[48:49], s[12:13], v[56:57]
	v_add_f64 v[60:61], v[60:61], v[94:95]
	v_add_f64 v[14:15], v[68:69], v[34:35]
	;; [unrolled: 1-line block ×27, first 2 shown]
	ds_store_b128 v53, v[32:35] offset:32
	ds_store_b128 v53, v[28:31] offset:48
	;; [unrolled: 1-line block ×11, first 2 shown]
	ds_store_b128 v53, v[0:3]
	ds_store_b128 v53, v[44:47] offset:192
.LBB0_13:
	s_or_b32 exec_lo, exec_lo, s33
	s_waitcnt vmcnt(0)
	v_and_b32_e32 v1, 0xff, v52
	v_add_nc_u32_e32 v0, 52, v52
	s_waitcnt lgkmcnt(0)
	s_barrier
	buffer_gl0_inv
	v_mul_lo_u16 v2, 0x4f, v1
	v_and_b32_e32 v3, 0xff, v0
	v_add_nc_u32_e32 v1, 0x68, v52
	s_mov_b32 s0, 0xe8584caa
	s_mov_b32 s1, 0x3febb67a
	v_lshrrev_b16 v51, 10, v2
	v_mul_lo_u16 v2, 0x4f, v3
	v_and_b32_e32 v3, 0xff, v1
	s_mov_b32 s3, 0xbfebb67a
	s_mov_b32 s2, s0
	v_mul_lo_u16 v4, v51, 13
	v_lshrrev_b16 v53, 10, v2
	v_mul_lo_u16 v2, 0x4f, v3
	v_and_b32_e32 v51, 0xffff, v51
	s_delay_alu instid0(VALU_DEP_4) | instskip(NEXT) | instid1(VALU_DEP_4)
	v_sub_nc_u16 v3, v52, v4
	v_mul_lo_u16 v4, v53, 13
	s_delay_alu instid0(VALU_DEP_4)
	v_lshrrev_b16 v102, 10, v2
	v_and_b32_e32 v53, 0xffff, v53
	v_mul_u32_u24_e32 v51, 0x340, v51
	v_and_b32_e32 v103, 0xff, v3
	v_sub_nc_u16 v2, v0, v4
	v_mul_lo_u16 v3, v102, 13
	v_mul_u32_u24_e32 v53, 0x340, v53
	s_delay_alu instid0(VALU_DEP_4) | instskip(NEXT) | instid1(VALU_DEP_4)
	v_mul_u32_u24_e32 v4, 3, v103
	v_and_b32_e32 v104, 0xff, v2
	s_delay_alu instid0(VALU_DEP_4) | instskip(NEXT) | instid1(VALU_DEP_3)
	v_sub_nc_u16 v2, v1, v3
	v_lshlrev_b32_e32 v11, 4, v4
	s_delay_alu instid0(VALU_DEP_3) | instskip(NEXT) | instid1(VALU_DEP_3)
	v_mul_u32_u24_e32 v12, 3, v104
	v_and_b32_e32 v105, 0xff, v2
	s_clause 0x1
	global_load_b128 v[3:6], v11, s[4:5] offset:16
	global_load_b128 v[7:10], v11, s[4:5]
	v_lshlrev_b32_e32 v2, 4, v12
	v_mul_u32_u24_e32 v19, 3, v105
	s_clause 0x1
	global_load_b128 v[11:14], v11, s[4:5] offset:32
	global_load_b128 v[15:18], v2, s[4:5]
	v_lshlrev_b32_e32 v35, 4, v19
	s_clause 0x4
	global_load_b128 v[19:22], v2, s[4:5] offset:16
	global_load_b128 v[23:26], v2, s[4:5] offset:32
	global_load_b128 v[27:30], v35, s[4:5]
	global_load_b128 v[31:34], v35, s[4:5] offset:16
	global_load_b128 v[35:38], v35, s[4:5] offset:32
	v_lshl_add_u32 v2, v52, 4, 0
	ds_load_b128 v[39:42], v2 offset:2496
	ds_load_b128 v[43:46], v2 offset:4992
	;; [unrolled: 1-line block ×10, first 2 shown]
	s_waitcnt vmcnt(8) lgkmcnt(8)
	v_mul_f64 v[86:87], v[45:46], v[5:6]
	s_waitcnt vmcnt(7)
	v_mul_f64 v[84:85], v[41:42], v[9:10]
	v_mul_f64 v[9:10], v[39:40], v[9:10]
	;; [unrolled: 1-line block ×3, first 2 shown]
	s_waitcnt vmcnt(6) lgkmcnt(7)
	v_mul_f64 v[88:89], v[49:50], v[13:14]
	v_mul_f64 v[13:14], v[47:48], v[13:14]
	s_waitcnt vmcnt(5) lgkmcnt(6)
	v_mul_f64 v[90:91], v[58:59], v[17:18]
	v_mul_f64 v[17:18], v[56:57], v[17:18]
	;; [unrolled: 3-line block ×7, first 2 shown]
	v_fma_f64 v[43:44], v[43:44], v[3:4], -v[86:87]
	v_fma_f64 v[39:40], v[39:40], v[7:8], -v[84:85]
	v_fma_f64 v[41:42], v[41:42], v[7:8], v[9:10]
	v_fma_f64 v[45:46], v[45:46], v[3:4], v[5:6]
	ds_load_b128 v[3:6], v2
	ds_load_b128 v[7:10], v2 offset:832
	v_fma_f64 v[47:48], v[47:48], v[11:12], -v[88:89]
	v_fma_f64 v[11:12], v[49:50], v[11:12], v[13:14]
	v_fma_f64 v[13:14], v[56:57], v[15:16], -v[90:91]
	v_fma_f64 v[15:16], v[58:59], v[15:16], v[17:18]
	;; [unrolled: 2-line block ×7, first 2 shown]
	s_waitcnt lgkmcnt(0)
	s_barrier
	buffer_gl0_inv
	v_add_f64 v[37:38], v[3:4], -v[43:44]
	v_add_f64 v[43:44], v[5:6], -v[45:46]
	;; [unrolled: 1-line block ×12, first 2 shown]
	v_fma_f64 v[33:34], v[3:4], 2.0, -v[37:38]
	v_fma_f64 v[60:61], v[5:6], 2.0, -v[43:44]
	v_fma_f64 v[23:24], v[39:40], 2.0, -v[45:46]
	v_fma_f64 v[31:32], v[41:42], 2.0, -v[11:12]
	v_add_f64 v[3:4], v[37:38], -v[11:12]
	v_add_f64 v[5:6], v[43:44], v[45:46]
	v_fma_f64 v[41:42], v[7:8], 2.0, -v[47:48]
	v_fma_f64 v[62:63], v[9:10], 2.0, -v[49:50]
	v_fma_f64 v[35:36], v[13:14], 2.0, -v[17:18]
	v_fma_f64 v[39:40], v[15:16], 2.0, -v[19:20]
	v_add_f64 v[7:8], v[47:48], -v[19:20]
	v_add_f64 v[9:10], v[49:50], v[17:18]
	v_fma_f64 v[64:65], v[80:81], 2.0, -v[56:57]
	v_fma_f64 v[66:67], v[82:83], 2.0, -v[58:59]
	v_fma_f64 v[25:26], v[25:26], 2.0, -v[29:30]
	v_fma_f64 v[27:28], v[27:28], 2.0, -v[21:22]
	v_add_f64 v[15:16], v[56:57], -v[21:22]
	v_add_f64 v[17:18], v[58:59], v[29:30]
	v_add_f64 v[11:12], v[33:34], -v[23:24]
	v_add_f64 v[13:14], v[60:61], -v[31:32]
	v_fma_f64 v[29:30], v[43:44], 2.0, -v[5:6]
	v_add_f64 v[19:20], v[41:42], -v[35:36]
	v_add_f64 v[21:22], v[62:63], -v[39:40]
	v_fma_f64 v[31:32], v[47:48], 2.0, -v[7:8]
	;; [unrolled: 3-line block ×3, first 2 shown]
	v_fma_f64 v[39:40], v[56:57], 2.0, -v[15:16]
	v_and_b32_e32 v56, 0xffff, v102
	v_mul_u32_u24_e32 v57, 5, v52
	s_delay_alu instid0(VALU_DEP_2) | instskip(NEXT) | instid1(VALU_DEP_2)
	v_mul_u32_u24_e32 v56, 0x340, v56
	v_lshlrev_b32_e32 v57, 4, v57
	v_fma_f64 v[35:36], v[33:34], 2.0, -v[11:12]
	v_fma_f64 v[37:38], v[60:61], 2.0, -v[13:14]
	v_fma_f64 v[33:34], v[49:50], 2.0, -v[9:10]
	v_lshlrev_b32_e32 v60, 4, v105
	v_fma_f64 v[43:44], v[41:42], 2.0, -v[19:20]
	v_fma_f64 v[45:46], v[62:63], 2.0, -v[21:22]
	;; [unrolled: 1-line block ×3, first 2 shown]
	v_lshlrev_b32_e32 v58, 4, v103
	v_lshlrev_b32_e32 v59, 4, v104
	v_add3_u32 v56, 0, v56, v60
	v_fma_f64 v[47:48], v[64:65], 2.0, -v[23:24]
	v_fma_f64 v[49:50], v[66:67], 2.0, -v[25:26]
	v_add3_u32 v51, 0, v51, v58
	v_add3_u32 v53, 0, v53, v59
	ds_store_b128 v51, v[11:14] offset:416
	ds_store_b128 v51, v[3:6] offset:624
	ds_store_b128 v51, v[35:38]
	ds_store_b128 v51, v[27:30] offset:208
	ds_store_b128 v53, v[19:22] offset:416
	;; [unrolled: 1-line block ×3, first 2 shown]
	ds_store_b128 v53, v[43:46]
	ds_store_b128 v53, v[31:34] offset:208
	ds_store_b128 v56, v[47:50]
	ds_store_b128 v56, v[39:42] offset:208
	ds_store_b128 v56, v[23:26] offset:416
	;; [unrolled: 1-line block ×3, first 2 shown]
	s_waitcnt lgkmcnt(0)
	s_barrier
	buffer_gl0_inv
	s_clause 0x4
	global_load_b128 v[3:6], v57, s[4:5] offset:656
	global_load_b128 v[7:10], v57, s[4:5] offset:688
	;; [unrolled: 1-line block ×5, first 2 shown]
	ds_load_b128 v[23:26], v2 offset:4992
	ds_load_b128 v[27:30], v2 offset:8320
	;; [unrolled: 1-line block ×6, first 2 shown]
	s_waitcnt vmcnt(4) lgkmcnt(5)
	v_mul_f64 v[47:48], v[25:26], v[5:6]
	v_mul_f64 v[49:50], v[23:24], v[5:6]
	s_waitcnt vmcnt(3) lgkmcnt(4)
	v_mul_f64 v[56:57], v[27:28], v[9:10]
	v_mul_f64 v[58:59], v[29:30], v[9:10]
	s_waitcnt lgkmcnt(3)
	v_mul_f64 v[60:61], v[33:34], v[5:6]
	v_mul_f64 v[5:6], v[31:32], v[5:6]
	s_waitcnt lgkmcnt(2)
	v_mul_f64 v[62:63], v[35:36], v[9:10]
	v_mul_f64 v[9:10], v[37:38], v[9:10]
	s_waitcnt vmcnt(2) lgkmcnt(1)
	v_mul_f64 v[64:65], v[41:42], v[13:14]
	v_mul_f64 v[66:67], v[39:40], v[13:14]
	s_waitcnt lgkmcnt(0)
	v_mul_f64 v[68:69], v[45:46], v[13:14]
	v_mul_f64 v[13:14], v[43:44], v[13:14]
	v_fma_f64 v[47:48], v[23:24], v[3:4], -v[47:48]
	v_fma_f64 v[49:50], v[25:26], v[3:4], v[49:50]
	v_fma_f64 v[56:57], v[29:30], v[7:8], v[56:57]
	v_fma_f64 v[58:59], v[27:28], v[7:8], -v[58:59]
	v_fma_f64 v[31:32], v[31:32], v[3:4], -v[60:61]
	v_fma_f64 v[33:34], v[33:34], v[3:4], v[5:6]
	v_fma_f64 v[37:38], v[37:38], v[7:8], v[62:63]
	v_fma_f64 v[35:36], v[35:36], v[7:8], -v[9:10]
	ds_load_b128 v[3:6], v2 offset:3328
	ds_load_b128 v[7:10], v2 offset:6656
	;; [unrolled: 1-line block ×4, first 2 shown]
	v_fma_f64 v[39:40], v[39:40], v[11:12], -v[64:65]
	v_fma_f64 v[41:42], v[41:42], v[11:12], v[66:67]
	v_fma_f64 v[43:44], v[43:44], v[11:12], -v[68:69]
	v_fma_f64 v[11:12], v[45:46], v[11:12], v[13:14]
	s_waitcnt vmcnt(1) lgkmcnt(3)
	v_mul_f64 v[60:61], v[5:6], v[17:18]
	v_mul_f64 v[62:63], v[3:4], v[17:18]
	s_waitcnt vmcnt(0) lgkmcnt(2)
	v_mul_f64 v[70:71], v[9:10], v[21:22]
	v_mul_f64 v[72:73], v[7:8], v[21:22]
	s_waitcnt lgkmcnt(1)
	v_mul_f64 v[74:75], v[25:26], v[17:18]
	v_mul_f64 v[17:18], v[23:24], v[17:18]
	s_waitcnt lgkmcnt(0)
	v_mul_f64 v[76:77], v[29:30], v[21:22]
	v_mul_f64 v[21:22], v[27:28], v[21:22]
	v_add_f64 v[64:65], v[49:50], v[56:57]
	v_add_f64 v[66:67], v[47:48], v[58:59]
	;; [unrolled: 1-line block ×4, first 2 shown]
	v_fma_f64 v[60:61], v[3:4], v[15:16], -v[60:61]
	v_fma_f64 v[62:63], v[5:6], v[15:16], v[62:63]
	v_fma_f64 v[68:69], v[7:8], v[19:20], -v[70:71]
	v_fma_f64 v[70:71], v[9:10], v[19:20], v[72:73]
	v_add_f64 v[3:4], v[49:50], -v[56:57]
	v_add_f64 v[5:6], v[47:48], -v[58:59]
	v_fma_f64 v[23:24], v[23:24], v[15:16], -v[74:75]
	v_fma_f64 v[15:16], v[25:26], v[15:16], v[17:18]
	v_fma_f64 v[17:18], v[27:28], v[19:20], -v[76:77]
	v_fma_f64 v[19:20], v[29:30], v[19:20], v[21:22]
	v_add_f64 v[21:22], v[33:34], -v[37:38]
	v_add_f64 v[25:26], v[31:32], -v[35:36]
	v_add_f64 v[31:32], v[43:44], v[31:32]
	v_fma_f64 v[7:8], v[64:65], -0.5, v[41:42]
	v_fma_f64 v[9:10], v[66:67], -0.5, v[39:40]
	v_add_f64 v[39:40], v[39:40], v[47:48]
	v_add_f64 v[41:42], v[41:42], v[49:50]
	v_fma_f64 v[13:14], v[13:14], -0.5, v[11:12]
	v_fma_f64 v[27:28], v[45:46], -0.5, v[43:44]
	v_add_f64 v[11:12], v[11:12], v[33:34]
	v_add_f64 v[29:30], v[60:61], v[68:69]
	;; [unrolled: 1-line block ×6, first 2 shown]
	v_fma_f64 v[64:65], v[5:6], s[2:3], v[7:8]
	v_fma_f64 v[72:73], v[3:4], s[0:1], v[9:10]
	;; [unrolled: 1-line block ×8, first 2 shown]
	ds_load_b128 v[3:6], v2
	ds_load_b128 v[7:10], v2 offset:832
	v_add_f64 v[27:28], v[62:63], -v[70:71]
	v_add_f64 v[39:40], v[39:40], v[58:59]
	v_add_f64 v[41:42], v[41:42], v[56:57]
	;; [unrolled: 1-line block ×3, first 2 shown]
	s_waitcnt lgkmcnt(0)
	s_barrier
	buffer_gl0_inv
	v_add_f64 v[25:26], v[3:4], v[60:61]
	v_add_f64 v[62:63], v[5:6], v[62:63]
	;; [unrolled: 1-line block ×4, first 2 shown]
	v_fma_f64 v[3:4], v[29:30], -0.5, v[3:4]
	v_add_f64 v[29:30], v[60:61], -v[68:69]
	v_fma_f64 v[5:6], v[45:46], -0.5, v[5:6]
	v_add_f64 v[15:16], v[15:16], -v[19:20]
	;; [unrolled: 2-line block ×3, first 2 shown]
	v_mul_f64 v[33:34], v[64:65], s[0:1]
	v_mul_f64 v[45:46], v[72:73], s[2:3]
	v_mul_f64 v[43:44], v[66:67], -0.5
	v_mul_f64 v[60:61], v[74:75], -0.5
	v_fma_f64 v[9:10], v[78:79], -0.5, v[9:10]
	v_mul_f64 v[76:77], v[80:81], s[0:1]
	v_mul_f64 v[84:85], v[21:22], s[2:3]
	v_mul_f64 v[78:79], v[82:83], -0.5
	v_mul_f64 v[86:87], v[13:14], -0.5
	v_add_f64 v[25:26], v[25:26], v[68:69]
	v_add_f64 v[62:63], v[62:63], v[70:71]
	;; [unrolled: 1-line block ×4, first 2 shown]
	v_fma_f64 v[37:38], v[27:28], s[0:1], v[3:4]
	v_fma_f64 v[47:48], v[27:28], s[2:3], v[3:4]
	;; [unrolled: 1-line block ×5, first 2 shown]
	v_fma_f64 v[27:28], v[72:73], 0.5, v[33:34]
	v_fma_f64 v[33:34], v[64:65], 0.5, v[45:46]
	v_fma_f64 v[29:30], v[74:75], s[0:1], v[43:44]
	v_fma_f64 v[43:44], v[66:67], s[2:3], v[60:61]
	;; [unrolled: 1-line block ×4, first 2 shown]
	v_fma_f64 v[66:67], v[21:22], 0.5, v[76:77]
	v_fma_f64 v[70:71], v[80:81], 0.5, v[84:85]
	v_fma_f64 v[64:65], v[23:24], s[0:1], v[9:10]
	v_fma_f64 v[68:69], v[13:14], s[0:1], v[78:79]
	;; [unrolled: 1-line block ×3, first 2 shown]
	v_add_f64 v[3:4], v[25:26], v[39:40]
	v_add_f64 v[5:6], v[62:63], v[41:42]
	v_add_f64 v[11:12], v[17:18], v[31:32]
	v_add_f64 v[13:14], v[19:20], v[35:36]
	v_add_f64 v[15:16], v[17:18], -v[31:32]
	v_add_f64 v[17:18], v[19:20], -v[35:36]
	v_add_f64 v[7:8], v[25:26], -v[39:40]
	v_add_f64 v[9:10], v[62:63], -v[41:42]
	v_add_f64 v[19:20], v[37:38], v[27:28]
	v_add_f64 v[21:22], v[49:50], v[33:34]
	v_add_f64 v[23:24], v[47:48], v[29:30]
	v_add_f64 v[25:26], v[56:57], v[43:44]
	v_add_f64 v[27:28], v[37:38], -v[27:28]
	v_add_f64 v[31:32], v[47:48], -v[29:30]
	v_add_f64 v[29:30], v[49:50], -v[33:34]
	v_add_f64 v[33:34], v[56:57], -v[43:44]
	;; [unrolled: 8-line block ×3, first 2 shown]
	ds_store_b128 v2, v[3:6]
	ds_store_b128 v2, v[19:22] offset:832
	ds_store_b128 v2, v[23:26] offset:1664
	;; [unrolled: 1-line block ×11, first 2 shown]
	s_waitcnt lgkmcnt(0)
	s_barrier
	buffer_gl0_inv
	s_and_saveexec_b32 s0, vcc_lo
	s_cbranch_execz .LBB0_15
; %bb.14:
	v_dual_mov_b32 v81, 0 :: v_dual_add_nc_u32 v80, 0x104, v52
	v_mad_u64_u32 v[83:84], null, s8, v1, 0
	v_add_nc_u32_e32 v115, 0x1a0, v52
	s_delay_alu instid0(VALU_DEP_3) | instskip(NEXT) | instid1(VALU_DEP_4)
	v_dual_mov_b32 v53, v81 :: v_dual_add_nc_u32 v112, 0x16c, v52
	v_lshlrev_b64 v[3:4], 4, v[80:81]
	v_mad_u64_u32 v[81:82], null, s8, v52, 0
	s_delay_alu instid0(VALU_DEP_3)
	v_lshlrev_b64 v[5:6], 4, v[52:53]
	v_lshrrev_b32_e32 v96, 3, v80
	v_mad_u64_u32 v[87:88], null, s8, v112, 0
	v_add_co_u32 v3, vcc_lo, s4, v3
	v_add_co_ci_u32_e32 v4, vcc_lo, s5, v4, vcc_lo
	v_add_co_u32 v5, vcc_lo, s4, v5
	v_add_co_ci_u32_e32 v6, vcc_lo, s5, v6, vcc_lo
	s_delay_alu instid0(VALU_DEP_4) | instskip(NEXT) | instid1(VALU_DEP_4)
	v_add_co_u32 v3, vcc_lo, 0x1000, v3
	v_add_co_ci_u32_e32 v4, vcc_lo, 0, v4, vcc_lo
	s_delay_alu instid0(VALU_DEP_4) | instskip(NEXT) | instid1(VALU_DEP_4)
	v_add_co_u32 v23, vcc_lo, 0x1000, v5
	v_add_co_ci_u32_e32 v24, vcc_lo, 0, v6, vcc_lo
	s_clause 0x5
	global_load_b128 v[3:6], v[3:4], off offset:688
	global_load_b128 v[7:10], v[23:24], off offset:688
	;; [unrolled: 1-line block ×6, first 2 shown]
	v_add_co_u32 v113, vcc_lo, s10, v54
	v_mad_u64_u32 v[53:54], null, s8, v0, 0
	ds_load_b128 v[27:30], v2 offset:4160
	ds_load_b128 v[31:34], v2 offset:3328
	;; [unrolled: 1-line block ×9, first 2 shown]
	ds_load_b128 v[68:71], v2
	ds_load_b128 v[72:75], v2 offset:5824
	ds_load_b128 v[76:79], v2 offset:4992
	v_add_co_ci_u32_e32 v114, vcc_lo, s11, v55, vcc_lo
	v_dual_mov_b32 v2, v82 :: v_dual_add_nc_u32 v55, 0x138, v52
	v_dual_mov_b32 v51, v54 :: v_dual_add_nc_u32 v116, 0x9c, v52
	v_mov_b32_e32 v54, v84
	v_mad_u64_u32 v[89:90], null, s8, v115, 0
	v_add_nc_u32_e32 v118, 0xd0, v52
	v_mad_u64_u32 v[85:86], null, s8, v55, 0
	v_add_nc_u32_e32 v117, 0x1d4, v52
	v_mul_hi_u32 v84, 0x1a41a41b, v96
	s_delay_alu instid0(VALU_DEP_4) | instskip(SKIP_1) | instid1(VALU_DEP_2)
	v_lshrrev_b32_e32 v95, 3, v118
	v_mad_u64_u32 v[91:92], null, s8, v116, 0
	v_mul_hi_u32 v82, 0x1a41a41b, v95
	s_waitcnt vmcnt(5)
	v_mad_u64_u32 v[95:96], null, s9, v52, v[2:3]
	v_mov_b32_e32 v2, v86
	v_mad_u64_u32 v[96:97], null, s9, v0, v[51:52]
	s_waitcnt vmcnt(4) lgkmcnt(0)
	v_mul_f64 v[100:101], v[7:8], v[78:79]
	v_mul_f64 v[78:79], v[9:10], v[78:79]
	v_mad_u64_u32 v[97:98], null, s9, v55, v[2:3]
	v_mul_f64 v[98:99], v[3:4], v[37:38]
	s_waitcnt vmcnt(3)
	v_mul_f64 v[102:103], v[11:12], v[74:75]
	v_mul_f64 v[74:75], v[13:14], v[74:75]
	s_waitcnt vmcnt(2)
	v_mul_f64 v[104:105], v[15:16], v[62:63]
	;; [unrolled: 3-line block ×4, first 2 shown]
	v_mul_f64 v[41:42], v[25:26], v[41:42]
	v_mul_f64 v[37:38], v[5:6], v[37:38]
	v_mad_u64_u32 v[93:94], null, s8, v117, 0
	v_mov_b32_e32 v0, v88
	v_mad_u64_u32 v[51:52], null, s9, v1, v[54:55]
	v_dual_mov_b32 v1, v90 :: v_dual_mov_b32 v52, v92
	v_mov_b32_e32 v86, v97
	v_mov_b32_e32 v54, v94
	s_delay_alu instid0(VALU_DEP_3) | instskip(SKIP_2) | instid1(VALU_DEP_4)
	v_mad_u64_u32 v[110:111], null, s9, v112, v[0:1]
	v_mad_u64_u32 v[111:112], null, s9, v115, v[1:2]
	;; [unrolled: 1-line block ×4, first 2 shown]
	v_lshrrev_b32_e32 v2, 2, v82
	v_lshrrev_b32_e32 v52, 2, v84
	v_mov_b32_e32 v82, v95
	v_mov_b32_e32 v54, v96
	;; [unrolled: 1-line block ×5, first 2 shown]
	v_mad_u32_u24 v95, 0x138, v2, v118
	v_mad_u32_u24 v96, 0x138, v52, v80
	v_lshlrev_b64 v[51:52], 4, v[81:82]
	v_fma_f64 v[0:1], v[5:6], v[35:36], v[98:99]
	v_fma_f64 v[5:6], v[9:10], v[76:77], v[100:101]
	v_fma_f64 v[8:9], v[76:77], v[7:8], -v[78:79]
	v_fma_f64 v[13:14], v[13:14], v[72:73], v[102:103]
	v_fma_f64 v[72:73], v[72:73], v[11:12], -v[74:75]
	;; [unrolled: 2-line block ×5, first 2 shown]
	v_fma_f64 v[35:36], v[35:36], v[3:4], -v[37:38]
	v_lshlrev_b64 v[53:54], 4, v[53:54]
	v_lshlrev_b64 v[80:81], 4, v[83:84]
	v_add_co_u32 v51, vcc_lo, v113, v51
	v_mov_b32_e32 v88, v110
	v_mad_u64_u32 v[82:83], null, s8, v95, 0
	v_add_co_ci_u32_e32 v52, vcc_lo, v114, v52, vcc_lo
	v_add_nc_u32_e32 v97, 0x138, v95
	v_lshlrev_b64 v[37:38], 4, v[85:86]
	v_add_co_u32 v53, vcc_lo, v113, v53
	v_mov_b32_e32 v90, v111
	v_add_nc_u32_e32 v98, 0x138, v96
	v_add_co_ci_u32_e32 v54, vcc_lo, v114, v54, vcc_lo
	v_lshlrev_b64 v[41:42], 4, v[87:88]
	v_add_co_u32 v78, vcc_lo, v113, v80
	v_add_co_ci_u32_e32 v79, vcc_lo, v114, v81, vcc_lo
	v_mad_u64_u32 v[80:81], null, s8, v97, 0
	v_lshlrev_b64 v[62:63], 4, v[89:90]
	v_mad_u64_u32 v[84:85], null, s8, v98, 0
	v_add_f64 v[6:7], v[70:71], -v[5:6]
	v_add_f64 v[4:5], v[68:69], -v[8:9]
	;; [unrolled: 1-line block ×12, first 2 shown]
	v_mov_b32_e32 v24, v83
	v_add_co_u32 v25, vcc_lo, v113, v37
	v_add_co_ci_u32_e32 v26, vcc_lo, v114, v38, vcc_lo
	v_mad_u64_u32 v[57:58], null, s8, v96, 0
	v_add_co_u32 v55, vcc_lo, v113, v41
	v_lshlrev_b64 v[74:75], 4, v[91:92]
	v_add_co_ci_u32_e32 v56, vcc_lo, v114, v42, vcc_lo
	v_mad_u64_u32 v[35:36], null, s9, v95, v[24:25]
	v_add_co_u32 v59, vcc_lo, v113, v62
	v_mov_b32_e32 v24, v81
	v_mov_b32_e32 v36, v85
	v_add_co_ci_u32_e32 v60, vcc_lo, v114, v63, vcc_lo
	v_add_co_u32 v61, vcc_lo, v113, v74
	v_mad_u64_u32 v[72:73], null, s9, v96, v[58:59]
	v_mad_u64_u32 v[73:74], null, s9, v97, v[24:25]
	v_add_co_ci_u32_e32 v62, vcc_lo, v114, v75, vcc_lo
	v_mad_u64_u32 v[74:75], null, s9, v98, v[36:37]
	v_mov_b32_e32 v83, v35
	v_fma_f64 v[37:38], v[70:71], 2.0, -v[6:7]
	v_fma_f64 v[35:36], v[68:69], 2.0, -v[4:5]
	;; [unrolled: 1-line block ×5, first 2 shown]
	v_mov_b32_e32 v85, v74
	v_fma_f64 v[47:48], v[47:48], 2.0, -v[12:13]
	v_fma_f64 v[45:46], v[45:46], 2.0, -v[18:19]
	;; [unrolled: 1-line block ×7, first 2 shown]
	v_lshlrev_b64 v[76:77], 4, v[93:94]
	v_mov_b32_e32 v58, v72
	v_lshlrev_b64 v[63:64], 4, v[82:83]
	v_mov_b32_e32 v81, v73
	v_lshlrev_b64 v[69:70], 4, v[84:85]
	v_add_co_u32 v65, vcc_lo, v113, v76
	v_lshlrev_b64 v[57:58], 4, v[57:58]
	v_add_co_ci_u32_e32 v66, vcc_lo, v114, v77, vcc_lo
	v_lshlrev_b64 v[67:68], 4, v[80:81]
	v_add_co_u32 v63, vcc_lo, v113, v63
	v_add_co_ci_u32_e32 v64, vcc_lo, v114, v64, vcc_lo
	v_add_co_u32 v57, vcc_lo, v113, v57
	v_add_co_ci_u32_e32 v58, vcc_lo, v114, v58, vcc_lo
	;; [unrolled: 2-line block ×4, first 2 shown]
	s_clause 0xb
	global_store_b128 v[51:52], v[35:38], off
	global_store_b128 v[25:26], v[4:7], off
	;; [unrolled: 1-line block ×12, first 2 shown]
.LBB0_15:
	s_nop 0
	s_sendmsg sendmsg(MSG_DEALLOC_VGPRS)
	s_endpgm
	.section	.rodata,"a",@progbits
	.p2align	6, 0x0
	.amdhsa_kernel fft_rtc_fwd_len624_factors_13_4_6_2_wgs_52_tpt_52_dp_ip_CI_sbrr_dirReg
		.amdhsa_group_segment_fixed_size 0
		.amdhsa_private_segment_fixed_size 0
		.amdhsa_kernarg_size 88
		.amdhsa_user_sgpr_count 15
		.amdhsa_user_sgpr_dispatch_ptr 0
		.amdhsa_user_sgpr_queue_ptr 0
		.amdhsa_user_sgpr_kernarg_segment_ptr 1
		.amdhsa_user_sgpr_dispatch_id 0
		.amdhsa_user_sgpr_private_segment_size 0
		.amdhsa_wavefront_size32 1
		.amdhsa_uses_dynamic_stack 0
		.amdhsa_enable_private_segment 0
		.amdhsa_system_sgpr_workgroup_id_x 1
		.amdhsa_system_sgpr_workgroup_id_y 0
		.amdhsa_system_sgpr_workgroup_id_z 0
		.amdhsa_system_sgpr_workgroup_info 0
		.amdhsa_system_vgpr_workitem_id 0
		.amdhsa_next_free_vgpr 214
		.amdhsa_next_free_sgpr 42
		.amdhsa_reserve_vcc 1
		.amdhsa_float_round_mode_32 0
		.amdhsa_float_round_mode_16_64 0
		.amdhsa_float_denorm_mode_32 3
		.amdhsa_float_denorm_mode_16_64 3
		.amdhsa_dx10_clamp 1
		.amdhsa_ieee_mode 1
		.amdhsa_fp16_overflow 0
		.amdhsa_workgroup_processor_mode 1
		.amdhsa_memory_ordered 1
		.amdhsa_forward_progress 0
		.amdhsa_shared_vgpr_count 0
		.amdhsa_exception_fp_ieee_invalid_op 0
		.amdhsa_exception_fp_denorm_src 0
		.amdhsa_exception_fp_ieee_div_zero 0
		.amdhsa_exception_fp_ieee_overflow 0
		.amdhsa_exception_fp_ieee_underflow 0
		.amdhsa_exception_fp_ieee_inexact 0
		.amdhsa_exception_int_div_zero 0
	.end_amdhsa_kernel
	.text
.Lfunc_end0:
	.size	fft_rtc_fwd_len624_factors_13_4_6_2_wgs_52_tpt_52_dp_ip_CI_sbrr_dirReg, .Lfunc_end0-fft_rtc_fwd_len624_factors_13_4_6_2_wgs_52_tpt_52_dp_ip_CI_sbrr_dirReg
                                        ; -- End function
	.section	.AMDGPU.csdata,"",@progbits
; Kernel info:
; codeLenInByte = 10168
; NumSgprs: 44
; NumVgprs: 214
; ScratchSize: 0
; MemoryBound: 1
; FloatMode: 240
; IeeeMode: 1
; LDSByteSize: 0 bytes/workgroup (compile time only)
; SGPRBlocks: 5
; VGPRBlocks: 26
; NumSGPRsForWavesPerEU: 44
; NumVGPRsForWavesPerEU: 214
; Occupancy: 7
; WaveLimiterHint : 1
; COMPUTE_PGM_RSRC2:SCRATCH_EN: 0
; COMPUTE_PGM_RSRC2:USER_SGPR: 15
; COMPUTE_PGM_RSRC2:TRAP_HANDLER: 0
; COMPUTE_PGM_RSRC2:TGID_X_EN: 1
; COMPUTE_PGM_RSRC2:TGID_Y_EN: 0
; COMPUTE_PGM_RSRC2:TGID_Z_EN: 0
; COMPUTE_PGM_RSRC2:TIDIG_COMP_CNT: 0
	.text
	.p2alignl 7, 3214868480
	.fill 96, 4, 3214868480
	.type	__hip_cuid_11543042ad63defb,@object ; @__hip_cuid_11543042ad63defb
	.section	.bss,"aw",@nobits
	.globl	__hip_cuid_11543042ad63defb
__hip_cuid_11543042ad63defb:
	.byte	0                               ; 0x0
	.size	__hip_cuid_11543042ad63defb, 1

	.ident	"AMD clang version 19.0.0git (https://github.com/RadeonOpenCompute/llvm-project roc-6.4.0 25133 c7fe45cf4b819c5991fe208aaa96edf142730f1d)"
	.section	".note.GNU-stack","",@progbits
	.addrsig
	.addrsig_sym __hip_cuid_11543042ad63defb
	.amdgpu_metadata
---
amdhsa.kernels:
  - .args:
      - .actual_access:  read_only
        .address_space:  global
        .offset:         0
        .size:           8
        .value_kind:     global_buffer
      - .offset:         8
        .size:           8
        .value_kind:     by_value
      - .actual_access:  read_only
        .address_space:  global
        .offset:         16
        .size:           8
        .value_kind:     global_buffer
      - .actual_access:  read_only
        .address_space:  global
        .offset:         24
        .size:           8
        .value_kind:     global_buffer
      - .offset:         32
        .size:           8
        .value_kind:     by_value
      - .actual_access:  read_only
        .address_space:  global
        .offset:         40
        .size:           8
        .value_kind:     global_buffer
      - .actual_access:  read_only
        .address_space:  global
        .offset:         48
        .size:           8
        .value_kind:     global_buffer
      - .offset:         56
        .size:           4
        .value_kind:     by_value
      - .actual_access:  read_only
        .address_space:  global
        .offset:         64
        .size:           8
        .value_kind:     global_buffer
      - .actual_access:  read_only
        .address_space:  global
        .offset:         72
        .size:           8
        .value_kind:     global_buffer
      - .address_space:  global
        .offset:         80
        .size:           8
        .value_kind:     global_buffer
    .group_segment_fixed_size: 0
    .kernarg_segment_align: 8
    .kernarg_segment_size: 88
    .language:       OpenCL C
    .language_version:
      - 2
      - 0
    .max_flat_workgroup_size: 52
    .name:           fft_rtc_fwd_len624_factors_13_4_6_2_wgs_52_tpt_52_dp_ip_CI_sbrr_dirReg
    .private_segment_fixed_size: 0
    .sgpr_count:     44
    .sgpr_spill_count: 0
    .symbol:         fft_rtc_fwd_len624_factors_13_4_6_2_wgs_52_tpt_52_dp_ip_CI_sbrr_dirReg.kd
    .uniform_work_group_size: 1
    .uses_dynamic_stack: false
    .vgpr_count:     214
    .vgpr_spill_count: 0
    .wavefront_size: 32
    .workgroup_processor_mode: 1
amdhsa.target:   amdgcn-amd-amdhsa--gfx1100
amdhsa.version:
  - 1
  - 2
...

	.end_amdgpu_metadata
